;; amdgpu-corpus repo=ROCm/rocFFT kind=compiled arch=gfx906 opt=O3
	.text
	.amdgcn_target "amdgcn-amd-amdhsa--gfx906"
	.amdhsa_code_object_version 6
	.protected	fft_rtc_back_len160_factors_4_10_4_wgs_192_tpt_16_dp_ip_CI_sbcc_twdbase5_3step_dirReg ; -- Begin function fft_rtc_back_len160_factors_4_10_4_wgs_192_tpt_16_dp_ip_CI_sbcc_twdbase5_3step_dirReg
	.globl	fft_rtc_back_len160_factors_4_10_4_wgs_192_tpt_16_dp_ip_CI_sbcc_twdbase5_3step_dirReg
	.p2align	8
	.type	fft_rtc_back_len160_factors_4_10_4_wgs_192_tpt_16_dp_ip_CI_sbcc_twdbase5_3step_dirReg,@function
fft_rtc_back_len160_factors_4_10_4_wgs_192_tpt_16_dp_ip_CI_sbcc_twdbase5_3step_dirReg: ; @fft_rtc_back_len160_factors_4_10_4_wgs_192_tpt_16_dp_ip_CI_sbcc_twdbase5_3step_dirReg
; %bb.0:
	s_load_dwordx8 s[8:15], s[4:5], 0x8
	s_movk_i32 s0, 0x60
	v_cmp_gt_u32_e64 s[0:1], s0, v0
	s_and_saveexec_b64 s[2:3], s[0:1]
	s_cbranch_execz .LBB0_2
; %bb.1:
	v_lshlrev_b32_e32 v5, 4, v0
	s_waitcnt lgkmcnt(0)
	global_load_dwordx4 v[1:4], v5, s[8:9]
	v_add_u32_e32 v5, 0, v5
	v_add_u32_e32 v5, 0x7800, v5
	s_waitcnt vmcnt(0)
	ds_write2_b64 v5, v[1:2], v[3:4] offset1:1
.LBB0_2:
	s_or_b64 exec, exec, s[2:3]
	s_waitcnt lgkmcnt(0)
	s_load_dwordx2 s[8:9], s[12:13], 0x8
	s_mov_b32 s7, 0
	s_mov_b64 s[26:27], 0
	s_waitcnt lgkmcnt(0)
	s_add_u32 s2, s8, -1
	s_addc_u32 s3, s9, -1
	s_add_u32 s16, 0, 0x55540000
	s_addc_u32 s17, 0, 0x55
	s_mul_hi_u32 s19, s16, -12
	s_add_i32 s17, s17, 0x15555500
	s_sub_i32 s19, s19, s16
	s_mul_i32 s22, s17, -12
	s_mul_i32 s18, s16, -12
	s_add_i32 s19, s19, s22
	s_mul_hi_u32 s20, s17, s18
	s_mul_i32 s21, s17, s18
	s_mul_i32 s23, s16, s19
	s_mul_hi_u32 s18, s16, s18
	s_mul_hi_u32 s22, s16, s19
	s_add_u32 s18, s18, s23
	s_addc_u32 s22, 0, s22
	s_add_u32 s18, s18, s21
	s_mul_hi_u32 s23, s17, s19
	s_addc_u32 s18, s22, s20
	s_addc_u32 s20, s23, 0
	s_mul_i32 s19, s17, s19
	s_add_u32 s18, s18, s19
	v_mov_b32_e32 v1, s18
	s_addc_u32 s19, 0, s20
	v_add_co_u32_e32 v1, vcc, s16, v1
	s_cmp_lg_u64 vcc, 0
	s_addc_u32 s16, s17, s19
	v_readfirstlane_b32 s19, v1
	s_mul_i32 s18, s2, s16
	s_mul_hi_u32 s20, s2, s19
	s_mul_hi_u32 s17, s2, s16
	s_add_u32 s18, s20, s18
	s_addc_u32 s17, 0, s17
	s_mul_hi_u32 s21, s3, s19
	s_mul_i32 s19, s3, s19
	s_add_u32 s18, s18, s19
	s_mul_hi_u32 s20, s3, s16
	s_addc_u32 s17, s17, s21
	s_addc_u32 s18, s20, 0
	s_mul_i32 s16, s3, s16
	s_add_u32 s16, s17, s16
	s_addc_u32 s17, 0, s18
	s_add_u32 s18, s16, 1
	s_addc_u32 s19, s17, 0
	s_add_u32 s20, s16, 2
	s_mul_i32 s22, s17, 12
	s_mul_hi_u32 s23, s16, 12
	s_addc_u32 s21, s17, 0
	s_add_i32 s23, s23, s22
	s_mul_i32 s22, s16, 12
	v_mov_b32_e32 v1, s22
	v_sub_co_u32_e32 v1, vcc, s2, v1
	s_cmp_lg_u64 vcc, 0
	s_subb_u32 s2, s3, s23
	v_subrev_co_u32_e32 v2, vcc, 12, v1
	s_cmp_lg_u64 vcc, 0
	s_subb_u32 s3, s2, 0
	v_readfirstlane_b32 s22, v2
	s_cmp_gt_u32 s22, 11
	s_cselect_b32 s22, -1, 0
	s_cmp_eq_u32 s3, 0
	s_cselect_b32 s3, s22, -1
	s_cmp_lg_u32 s3, 0
	s_cselect_b32 s3, s20, s18
	s_cselect_b32 s18, s21, s19
	v_readfirstlane_b32 s19, v1
	s_cmp_gt_u32 s19, 11
	s_cselect_b32 s19, -1, 0
	s_cmp_eq_u32 s2, 0
	s_cselect_b32 s2, s19, -1
	s_cmp_lg_u32 s2, 0
	s_cselect_b32 s3, s3, s16
	s_cselect_b32 s2, s18, s17
	s_add_u32 s24, s3, 1
	s_addc_u32 s25, s2, 0
	v_mov_b32_e32 v1, s24
	v_mov_b32_e32 v2, s25
	v_cmp_lt_u64_e32 vcc, s[6:7], v[1:2]
	s_cbranch_vccnz .LBB0_4
; %bb.3:
	v_cvt_f32_u32_e32 v1, s24
	s_sub_i32 s2, 0, s24
	s_mov_b32 s27, s7
	v_rcp_iflag_f32_e32 v1, v1
	v_mul_f32_e32 v1, 0x4f7ffffe, v1
	v_cvt_u32_f32_e32 v1, v1
	v_readfirstlane_b32 s3, v1
	s_mul_i32 s2, s2, s3
	s_mul_hi_u32 s2, s3, s2
	s_add_i32 s3, s3, s2
	s_mul_hi_u32 s2, s6, s3
	s_mul_i32 s16, s2, s24
	s_sub_i32 s16, s6, s16
	s_add_i32 s3, s2, 1
	s_sub_i32 s17, s16, s24
	s_cmp_ge_u32 s16, s24
	s_cselect_b32 s2, s3, s2
	s_cselect_b32 s16, s17, s16
	s_add_i32 s3, s2, 1
	s_cmp_ge_u32 s16, s24
	s_cselect_b32 s26, s3, s2
.LBB0_4:
	s_mul_i32 s2, s26, s25
	s_mul_hi_u32 s3, s26, s24
	s_load_dwordx2 s[20:21], s[4:5], 0x58
	s_load_dwordx2 s[22:23], s[4:5], 0x0
	s_load_dwordx4 s[16:19], s[14:15], 0x0
	s_add_i32 s3, s3, s2
	s_mul_i32 s2, s26, s24
	s_sub_u32 s33, s6, s2
	s_subb_u32 s2, 0, s3
	s_mul_i32 s2, s2, 12
	s_mul_hi_u32 s38, s33, 12
	s_add_i32 s38, s38, s2
	s_mul_i32 s33, s33, 12
	s_waitcnt lgkmcnt(0)
	s_mul_i32 s2, s18, s38
	s_mul_hi_u32 s3, s18, s33
	s_add_i32 s2, s3, s2
	s_mul_i32 s3, s19, s33
	s_add_i32 s39, s2, s3
	v_cmp_lt_u64_e64 s[2:3], s[10:11], 3
	s_mul_i32 s40, s18, s33
	s_and_b64 vcc, exec, s[2:3]
	s_cbranch_vccnz .LBB0_14
; %bb.5:
	s_add_u32 s4, s14, 16
	s_addc_u32 s5, s15, 0
	s_add_u32 s12, s12, 16
	v_mov_b32_e32 v1, s10
	s_addc_u32 s13, s13, 0
	s_mov_b64 s[28:29], 2
	s_mov_b32 s30, 0
	v_mov_b32_e32 v2, s11
.LBB0_6:                                ; =>This Inner Loop Header: Depth=1
	s_load_dwordx2 s[34:35], s[12:13], 0x0
	s_waitcnt lgkmcnt(0)
	s_or_b64 s[2:3], s[26:27], s[34:35]
	s_mov_b32 s31, s3
	s_cmp_lg_u64 s[30:31], 0
	s_cbranch_scc0 .LBB0_11
; %bb.7:                                ;   in Loop: Header=BB0_6 Depth=1
	v_cvt_f32_u32_e32 v3, s34
	v_cvt_f32_u32_e32 v4, s35
	s_sub_u32 s2, 0, s34
	s_subb_u32 s3, 0, s35
	v_mac_f32_e32 v3, 0x4f800000, v4
	v_rcp_f32_e32 v3, v3
	v_mul_f32_e32 v3, 0x5f7ffffc, v3
	v_mul_f32_e32 v4, 0x2f800000, v3
	v_trunc_f32_e32 v4, v4
	v_mac_f32_e32 v3, 0xcf800000, v4
	v_cvt_u32_f32_e32 v4, v4
	v_cvt_u32_f32_e32 v3, v3
	v_readfirstlane_b32 s31, v4
	v_readfirstlane_b32 s36, v3
	s_mul_i32 s37, s2, s31
	s_mul_hi_u32 s42, s2, s36
	s_mul_i32 s41, s3, s36
	s_add_i32 s37, s42, s37
	s_mul_i32 s43, s2, s36
	s_add_i32 s37, s37, s41
	s_mul_hi_u32 s41, s36, s37
	s_mul_i32 s42, s36, s37
	s_mul_hi_u32 s36, s36, s43
	s_add_u32 s36, s36, s42
	s_addc_u32 s41, 0, s41
	s_mul_hi_u32 s44, s31, s43
	s_mul_i32 s43, s31, s43
	s_add_u32 s36, s36, s43
	s_mul_hi_u32 s42, s31, s37
	s_addc_u32 s36, s41, s44
	s_addc_u32 s41, s42, 0
	s_mul_i32 s37, s31, s37
	s_add_u32 s36, s36, s37
	s_addc_u32 s37, 0, s41
	v_add_co_u32_e32 v3, vcc, s36, v3
	s_cmp_lg_u64 vcc, 0
	s_addc_u32 s31, s31, s37
	v_readfirstlane_b32 s37, v3
	s_mul_i32 s36, s2, s31
	s_mul_hi_u32 s41, s2, s37
	s_add_i32 s36, s41, s36
	s_mul_i32 s3, s3, s37
	s_add_i32 s36, s36, s3
	s_mul_i32 s2, s2, s37
	s_mul_hi_u32 s41, s31, s2
	s_mul_i32 s42, s31, s2
	s_mul_i32 s44, s37, s36
	s_mul_hi_u32 s2, s37, s2
	s_mul_hi_u32 s43, s37, s36
	s_add_u32 s2, s2, s44
	s_addc_u32 s37, 0, s43
	s_add_u32 s2, s2, s42
	s_mul_hi_u32 s3, s31, s36
	s_addc_u32 s2, s37, s41
	s_addc_u32 s3, s3, 0
	s_mul_i32 s36, s31, s36
	s_add_u32 s2, s2, s36
	s_addc_u32 s3, 0, s3
	v_add_co_u32_e32 v3, vcc, s2, v3
	s_cmp_lg_u64 vcc, 0
	s_addc_u32 s2, s31, s3
	v_readfirstlane_b32 s36, v3
	s_mul_i32 s31, s26, s2
	s_mul_hi_u32 s37, s26, s36
	s_mul_hi_u32 s3, s26, s2
	s_add_u32 s31, s37, s31
	s_addc_u32 s3, 0, s3
	s_mul_hi_u32 s41, s27, s36
	s_mul_i32 s36, s27, s36
	s_add_u32 s31, s31, s36
	s_mul_hi_u32 s37, s27, s2
	s_addc_u32 s3, s3, s41
	s_addc_u32 s31, s37, 0
	s_mul_i32 s2, s27, s2
	s_add_u32 s36, s3, s2
	s_addc_u32 s31, 0, s31
	s_mul_i32 s2, s34, s31
	s_mul_hi_u32 s3, s34, s36
	s_add_i32 s2, s3, s2
	s_mul_i32 s3, s35, s36
	s_add_i32 s37, s2, s3
	s_mul_i32 s3, s34, s36
	v_mov_b32_e32 v3, s3
	s_sub_i32 s2, s27, s37
	v_sub_co_u32_e32 v3, vcc, s26, v3
	s_cmp_lg_u64 vcc, 0
	s_subb_u32 s41, s2, s35
	v_subrev_co_u32_e64 v4, s[2:3], s34, v3
	s_cmp_lg_u64 s[2:3], 0
	s_subb_u32 s2, s41, 0
	s_cmp_ge_u32 s2, s35
	v_readfirstlane_b32 s41, v4
	s_cselect_b32 s3, -1, 0
	s_cmp_ge_u32 s41, s34
	s_cselect_b32 s41, -1, 0
	s_cmp_eq_u32 s2, s35
	s_cselect_b32 s2, s41, s3
	s_add_u32 s3, s36, 1
	s_addc_u32 s41, s31, 0
	s_add_u32 s42, s36, 2
	s_addc_u32 s43, s31, 0
	s_cmp_lg_u32 s2, 0
	s_cselect_b32 s2, s42, s3
	s_cselect_b32 s3, s43, s41
	s_cmp_lg_u64 vcc, 0
	s_subb_u32 s37, s27, s37
	s_cmp_ge_u32 s37, s35
	v_readfirstlane_b32 s42, v3
	s_cselect_b32 s41, -1, 0
	s_cmp_ge_u32 s42, s34
	s_cselect_b32 s42, -1, 0
	s_cmp_eq_u32 s37, s35
	s_cselect_b32 s37, s42, s41
	s_cmp_lg_u32 s37, 0
	s_cselect_b32 s3, s3, s31
	s_cselect_b32 s2, s2, s36
	s_cbranch_execnz .LBB0_9
.LBB0_8:                                ;   in Loop: Header=BB0_6 Depth=1
	v_cvt_f32_u32_e32 v3, s34
	s_sub_i32 s2, 0, s34
	v_rcp_iflag_f32_e32 v3, v3
	v_mul_f32_e32 v3, 0x4f7ffffe, v3
	v_cvt_u32_f32_e32 v3, v3
	v_readfirstlane_b32 s3, v3
	s_mul_i32 s2, s2, s3
	s_mul_hi_u32 s2, s3, s2
	s_add_i32 s3, s3, s2
	s_mul_hi_u32 s2, s26, s3
	s_mul_i32 s31, s2, s34
	s_sub_i32 s31, s26, s31
	s_add_i32 s3, s2, 1
	s_sub_i32 s36, s31, s34
	s_cmp_ge_u32 s31, s34
	s_cselect_b32 s2, s3, s2
	s_cselect_b32 s31, s36, s31
	s_add_i32 s3, s2, 1
	s_cmp_ge_u32 s31, s34
	s_cselect_b32 s2, s3, s2
	s_mov_b32 s3, s30
.LBB0_9:                                ;   in Loop: Header=BB0_6 Depth=1
	s_mul_i32 s25, s34, s25
	s_mul_hi_u32 s31, s34, s24
	s_add_i32 s25, s31, s25
	s_mul_i32 s31, s35, s24
	s_add_i32 s25, s25, s31
	s_mul_i32 s31, s2, s35
	s_mul_hi_u32 s35, s2, s34
	s_load_dwordx2 s[36:37], s[4:5], 0x0
	s_add_i32 s31, s35, s31
	s_mul_i32 s35, s3, s34
	s_mul_i32 s24, s34, s24
	s_add_i32 s31, s31, s35
	s_mul_i32 s34, s2, s34
	s_sub_u32 s26, s26, s34
	s_subb_u32 s27, s27, s31
	s_waitcnt lgkmcnt(0)
	s_mul_i32 s27, s36, s27
	s_mul_hi_u32 s31, s36, s26
	s_add_i32 s27, s31, s27
	s_mul_i32 s31, s37, s26
	s_add_i32 s27, s27, s31
	s_mul_i32 s26, s36, s26
	s_add_u32 s40, s26, s40
	s_addc_u32 s39, s27, s39
	s_add_u32 s28, s28, 1
	s_addc_u32 s29, s29, 0
	;; [unrolled: 2-line block ×3, first 2 shown]
	v_cmp_ge_u64_e32 vcc, s[28:29], v[1:2]
	s_add_u32 s12, s12, 8
	s_addc_u32 s13, s13, 0
	s_cbranch_vccnz .LBB0_12
; %bb.10:                               ;   in Loop: Header=BB0_6 Depth=1
	s_mov_b64 s[26:27], s[2:3]
	s_branch .LBB0_6
.LBB0_11:                               ;   in Loop: Header=BB0_6 Depth=1
                                        ; implicit-def: $sgpr2_sgpr3
	s_branch .LBB0_8
.LBB0_12:
	v_mov_b32_e32 v1, s24
	v_mov_b32_e32 v2, s25
	v_cmp_lt_u64_e32 vcc, s[6:7], v[1:2]
	s_mov_b64 s[26:27], 0
	s_cbranch_vccnz .LBB0_14
; %bb.13:
	v_cvt_f32_u32_e32 v1, s24
	s_sub_i32 s2, 0, s24
	v_rcp_iflag_f32_e32 v1, v1
	v_mul_f32_e32 v1, 0x4f7ffffe, v1
	v_cvt_u32_f32_e32 v1, v1
	v_readfirstlane_b32 s3, v1
	s_mul_i32 s2, s2, s3
	s_mul_hi_u32 s2, s3, s2
	s_add_i32 s3, s3, s2
	s_mul_hi_u32 s2, s6, s3
	s_mul_i32 s4, s2, s24
	s_sub_i32 s4, s6, s4
	s_add_i32 s3, s2, 1
	s_sub_i32 s5, s4, s24
	s_cmp_ge_u32 s4, s24
	s_cselect_b32 s2, s3, s2
	s_cselect_b32 s4, s5, s4
	s_add_i32 s3, s2, 1
	s_cmp_ge_u32 s4, s24
	s_cselect_b32 s26, s3, s2
.LBB0_14:
	s_lshl_b64 s[2:3], s[10:11], 3
	s_add_u32 s2, s14, s2
	s_addc_u32 s3, s15, s3
	s_load_dwordx2 s[2:3], s[2:3], 0x0
	s_mov_b32 s4, 0x15555556
	v_mul_hi_u32 v113, v0, s4
	v_mov_b32_e32 v2, s38
	s_waitcnt lgkmcnt(0)
	s_mul_i32 s3, s3, s26
	s_mul_hi_u32 s4, s2, s26
	s_mul_i32 s2, s2, s26
	s_add_i32 s3, s4, s3
	s_add_u32 s4, s2, s40
	s_addc_u32 s5, s3, s39
	v_mul_u32_u24_e32 v1, 12, v113
	v_sub_u32_e32 v114, v0, v1
	s_add_u32 s2, s33, 12
	v_mov_b32_e32 v0, s8
	s_addc_u32 s3, s38, 0
	v_mov_b32_e32 v1, s9
	v_cmp_le_u64_e64 s[2:3], s[2:3], v[0:1]
	v_add_co_u32_e32 v108, vcc, s33, v114
	v_addc_co_u32_e32 v109, vcc, 0, v2, vcc
	s_and_b64 vcc, exec, s[2:3]
	v_add_u32_e32 v48, 16, v113
	s_cbranch_vccz .LBB0_18
; %bb.15:
	v_mad_u64_u32 v[0:1], s[6:7], s18, v114, 0
	v_mad_u64_u32 v[2:3], s[6:7], s16, v113, 0
	v_add_u32_e32 v7, 40, v113
	v_add_u32_e32 v110, 16, v113
	v_mad_u64_u32 v[4:5], s[6:7], s19, v114, v[1:2]
	v_mov_b32_e32 v1, v3
	v_mad_u64_u32 v[5:6], s[6:7], s17, v113, v[1:2]
	s_lshl_b64 s[6:7], s[4:5], 4
	s_add_u32 s10, s20, s6
	s_addc_u32 s6, s21, s7
	v_mov_b32_e32 v1, v4
	v_mov_b32_e32 v3, v5
	;; [unrolled: 1-line block ×3, first 2 shown]
	v_mad_u64_u32 v[4:5], s[6:7], s16, v7, 0
	v_lshlrev_b64 v[0:1], 4, v[0:1]
	v_add_co_u32_e32 v42, vcc, s10, v0
	v_addc_co_u32_e32 v43, vcc, v6, v1, vcc
	v_lshlrev_b64 v[0:1], 4, v[2:3]
	v_mov_b32_e32 v2, v5
	v_mad_u64_u32 v[2:3], s[6:7], s17, v7, v[2:3]
	v_add_u32_e32 v3, 0x50, v113
	v_mad_u64_u32 v[6:7], s[6:7], s16, v3, 0
	v_add_co_u32_e32 v8, vcc, v42, v0
	v_mov_b32_e32 v5, v2
	v_mov_b32_e32 v2, v7
	v_addc_co_u32_e32 v9, vcc, v43, v1, vcc
	v_lshlrev_b64 v[0:1], 4, v[4:5]
	v_mad_u64_u32 v[2:3], s[6:7], s17, v3, v[2:3]
	v_add_u32_e32 v5, 0x78, v113
	v_mad_u64_u32 v[3:4], s[6:7], s16, v5, 0
	v_mov_b32_e32 v7, v2
	v_add_co_u32_e32 v10, vcc, v42, v0
	v_mov_b32_e32 v2, v4
	v_mad_u64_u32 v[4:5], s[6:7], s17, v5, v[2:3]
	v_addc_co_u32_e32 v11, vcc, v43, v1, vcc
	v_lshlrev_b64 v[0:1], 4, v[6:7]
	v_mad_u64_u32 v[5:6], s[6:7], s16, v110, 0
	v_add_co_u32_e32 v32, vcc, v42, v0
	v_mov_b32_e32 v2, v6
	v_addc_co_u32_e32 v33, vcc, v43, v1, vcc
	v_lshlrev_b64 v[0:1], 4, v[3:4]
	v_mad_u64_u32 v[2:3], s[6:7], s17, v110, v[2:3]
	v_add_u32_e32 v7, 56, v113
	v_mad_u64_u32 v[3:4], s[6:7], s16, v7, 0
	v_add_co_u32_e32 v34, vcc, v42, v0
	v_mov_b32_e32 v6, v2
	v_mov_b32_e32 v2, v4
	v_addc_co_u32_e32 v35, vcc, v43, v1, vcc
	v_lshlrev_b64 v[0:1], 4, v[5:6]
	v_mad_u64_u32 v[4:5], s[6:7], s17, v7, v[2:3]
	v_or_b32_e32 v7, 0x60, v113
	v_mad_u64_u32 v[5:6], s[6:7], s16, v7, 0
	v_add_co_u32_e32 v36, vcc, v42, v0
	v_mov_b32_e32 v2, v6
	v_addc_co_u32_e32 v37, vcc, v43, v1, vcc
	v_lshlrev_b64 v[0:1], 4, v[3:4]
	v_mad_u64_u32 v[2:3], s[6:7], s17, v7, v[2:3]
	v_add_u32_e32 v3, 0x88, v113
	v_mad_u64_u32 v[12:13], s[6:7], s16, v3, 0
	v_mov_b32_e32 v6, v2
	v_add_co_u32_e32 v38, vcc, v42, v0
	v_mov_b32_e32 v2, v13
	v_mad_u64_u32 v[13:14], s[6:7], s17, v3, v[2:3]
	v_addc_co_u32_e32 v39, vcc, v43, v1, vcc
	v_lshlrev_b64 v[0:1], 4, v[5:6]
	v_add_co_u32_e32 v40, vcc, v42, v0
	v_addc_co_u32_e32 v41, vcc, v43, v1, vcc
	global_load_dwordx4 v[0:3], v[8:9], off
	global_load_dwordx4 v[4:7], v[10:11], off
	v_lshlrev_b64 v[8:9], 4, v[12:13]
	v_add_co_u32_e32 v44, vcc, v42, v8
	v_addc_co_u32_e32 v45, vcc, v43, v9, vcc
	global_load_dwordx4 v[24:27], v[32:33], off
	global_load_dwordx4 v[12:15], v[34:35], off
	;; [unrolled: 1-line block ×6, first 2 shown]
                                        ; implicit-def: $vgpr32_vgpr33
                                        ; implicit-def: $vgpr40_vgpr41
                                        ; implicit-def: $vgpr44_vgpr45
                                        ; implicit-def: $vgpr36_vgpr37
	s_and_saveexec_b64 s[6:7], s[0:1]
	s_cbranch_execz .LBB0_17
; %bb.16:
	v_or_b32_e32 v36, 32, v113
	v_add_u32_e32 v38, 0x48, v113
	v_mad_u64_u32 v[32:33], s[10:11], s16, v36, 0
	v_mad_u64_u32 v[34:35], s[10:11], s16, v38, 0
	v_add_u32_e32 v52, 0x98, v113
	v_mad_u64_u32 v[36:37], s[10:11], s17, v36, v[33:34]
	v_mov_b32_e32 v33, v36
	v_mad_u64_u32 v[35:36], s[10:11], s17, v38, v[35:36]
	v_lshlrev_b64 v[32:33], 4, v[32:33]
	v_add_co_u32_e32 v40, vcc, v42, v32
	v_addc_co_u32_e32 v41, vcc, v43, v33, vcc
	v_lshlrev_b64 v[32:33], 4, v[34:35]
	v_or_b32_e32 v34, 0x70, v113
	v_mad_u64_u32 v[44:45], s[10:11], s16, v34, 0
	v_add_co_u32_e32 v46, vcc, v42, v32
	v_mov_b32_e32 v32, v45
	v_mad_u64_u32 v[49:50], s[10:11], s17, v34, v[32:33]
	v_mad_u64_u32 v[50:51], s[10:11], s16, v52, 0
	v_mov_b32_e32 v45, v49
	v_addc_co_u32_e32 v47, vcc, v43, v33, vcc
	global_load_dwordx4 v[32:35], v[40:41], off
	global_load_dwordx4 v[36:39], v[46:47], off
	v_lshlrev_b64 v[40:41], 4, v[44:45]
	v_mov_b32_e32 v44, v51
	v_mad_u64_u32 v[44:45], s[10:11], s17, v52, v[44:45]
	v_add_co_u32_e32 v52, vcc, v42, v40
	v_mov_b32_e32 v51, v44
	v_addc_co_u32_e32 v53, vcc, v43, v41, vcc
	v_lshlrev_b64 v[40:41], 4, v[50:51]
	v_add_co_u32_e32 v49, vcc, v42, v40
	v_addc_co_u32_e32 v50, vcc, v43, v41, vcc
	global_load_dwordx4 v[44:47], v[52:53], off
	global_load_dwordx4 v[40:43], v[49:50], off
.LBB0_17:
	s_or_b64 exec, exec, s[6:7]
	s_cbranch_execz .LBB0_19
	s_branch .LBB0_26
.LBB0_18:
                                        ; implicit-def: $vgpr0_vgpr1
                                        ; implicit-def: $vgpr12_vgpr13
                                        ; implicit-def: $vgpr8_vgpr9
                                        ; implicit-def: $vgpr20_vgpr21
                                        ; implicit-def: $vgpr32_vgpr33
                                        ; implicit-def: $vgpr110
                                        ; implicit-def: $vgpr40_vgpr41
                                        ; implicit-def: $vgpr44_vgpr45
                                        ; implicit-def: $vgpr36_vgpr37
                                        ; implicit-def: $vgpr28_vgpr29
                                        ; implicit-def: $vgpr16_vgpr17
                                        ; implicit-def: $vgpr24_vgpr25
                                        ; implicit-def: $vgpr4_vgpr5
.LBB0_19:
	v_cmp_le_u64_e32 vcc, s[8:9], v[108:109]
                                        ; implicit-def: $vgpr110
	s_and_saveexec_b64 s[6:7], vcc
	s_xor_b64 s[6:7], exec, s[6:7]
; %bb.20:
	v_add_u32_e32 v110, 16, v113
                                        ; implicit-def: $vgpr48
; %bb.21:
	s_or_saveexec_b64 s[6:7], s[6:7]
                                        ; implicit-def: $vgpr0_vgpr1
                                        ; implicit-def: $vgpr12_vgpr13
                                        ; implicit-def: $vgpr8_vgpr9
                                        ; implicit-def: $vgpr20_vgpr21
                                        ; implicit-def: $vgpr32_vgpr33
                                        ; implicit-def: $vgpr40_vgpr41
                                        ; implicit-def: $vgpr44_vgpr45
                                        ; implicit-def: $vgpr36_vgpr37
                                        ; implicit-def: $vgpr28_vgpr29
                                        ; implicit-def: $vgpr16_vgpr17
                                        ; implicit-def: $vgpr24_vgpr25
                                        ; implicit-def: $vgpr4_vgpr5
	s_xor_b64 exec, exec, s[6:7]
	s_cbranch_execz .LBB0_25
; %bb.22:
	s_waitcnt vmcnt(7)
	v_mad_u64_u32 v[0:1], s[10:11], s18, v114, 0
	v_mad_u64_u32 v[2:3], s[10:11], s16, v113, 0
	s_waitcnt vmcnt(6)
	v_add_u32_e32 v7, 40, v113
	s_waitcnt vmcnt(2)
	v_add_u32_e32 v17, 0x78, v113
	v_mad_u64_u32 v[4:5], s[10:11], s19, v114, v[1:2]
	v_mov_b32_e32 v1, v3
	v_mad_u64_u32 v[5:6], s[10:11], s17, v113, v[1:2]
	s_lshl_b64 s[10:11], s[4:5], 4
	s_add_u32 s12, s20, s10
	s_addc_u32 s10, s21, s11
	v_mov_b32_e32 v1, v4
	v_mov_b32_e32 v3, v5
	;; [unrolled: 1-line block ×3, first 2 shown]
	v_mad_u64_u32 v[4:5], s[10:11], s16, v7, 0
	v_lshlrev_b64 v[0:1], 4, v[0:1]
	s_waitcnt vmcnt(0)
	v_add_u32_e32 v20, 56, v113
	v_add_co_u32_e32 v42, vcc, s12, v0
	v_addc_co_u32_e32 v43, vcc, v6, v1, vcc
	v_lshlrev_b64 v[0:1], 4, v[2:3]
	v_mov_b32_e32 v2, v5
	v_mad_u64_u32 v[2:3], s[10:11], s17, v7, v[2:3]
	v_add_co_u32_e32 v8, vcc, v42, v0
	v_mov_b32_e32 v5, v2
	v_add_u32_e32 v2, 0x50, v113
	v_mad_u64_u32 v[10:11], s[10:11], s16, v2, 0
	v_addc_co_u32_e32 v9, vcc, v43, v1, vcc
	v_lshlrev_b64 v[0:1], 4, v[4:5]
	v_add_u32_e32 v33, 0x88, v113
	v_add_co_u32_e32 v12, vcc, v42, v0
	v_mov_b32_e32 v0, v11
	v_mad_u64_u32 v[14:15], s[10:11], s17, v2, v[0:1]
	v_mad_u64_u32 v[15:16], s[10:11], s16, v17, 0
	v_mov_b32_e32 v11, v14
	v_addc_co_u32_e32 v13, vcc, v43, v1, vcc
	global_load_dwordx4 v[0:3], v[8:9], off
	global_load_dwordx4 v[4:7], v[12:13], off
	v_lshlrev_b64 v[8:9], 4, v[10:11]
	v_mov_b32_e32 v10, v16
	v_mad_u64_u32 v[10:11], s[10:11], s17, v17, v[10:11]
	v_add_co_u32_e32 v8, vcc, v42, v8
	v_mov_b32_e32 v16, v10
	v_lshlrev_b64 v[10:11], 4, v[15:16]
	v_mad_u64_u32 v[16:17], s[10:11], s16, v48, 0
	v_addc_co_u32_e32 v9, vcc, v43, v9, vcc
	v_mov_b32_e32 v12, v17
	v_mad_u64_u32 v[17:18], s[10:11], s17, v48, v[12:13]
	v_mad_u64_u32 v[18:19], s[10:11], s16, v20, 0
	v_add_co_u32_e32 v10, vcc, v42, v10
	v_addc_co_u32_e32 v11, vcc, v43, v11, vcc
	global_load_dwordx4 v[24:27], v[8:9], off
	global_load_dwordx4 v[12:15], v[10:11], off
	v_mov_b32_e32 v10, v19
	v_mad_u64_u32 v[10:11], s[10:11], s17, v20, v[10:11]
	v_lshlrev_b64 v[8:9], 4, v[16:17]
                                        ; implicit-def: $vgpr40_vgpr41
                                        ; implicit-def: $vgpr44_vgpr45
	v_mov_b32_e32 v19, v10
	v_or_b32_e32 v10, 0x60, v113
	v_mad_u64_u32 v[22:23], s[10:11], s16, v10, 0
	v_add_co_u32_e32 v20, vcc, v42, v8
	v_addc_co_u32_e32 v21, vcc, v43, v9, vcc
	v_lshlrev_b64 v[8:9], 4, v[18:19]
	v_add_co_u32_e32 v28, vcc, v42, v8
	v_mov_b32_e32 v8, v23
	v_mad_u64_u32 v[30:31], s[10:11], s17, v10, v[8:9]
	v_mad_u64_u32 v[31:32], s[10:11], s16, v33, 0
	v_mov_b32_e32 v23, v30
	v_addc_co_u32_e32 v29, vcc, v43, v9, vcc
	global_load_dwordx4 v[8:11], v[20:21], off
	global_load_dwordx4 v[16:19], v[28:29], off
	v_lshlrev_b64 v[20:21], 4, v[22:23]
	v_mov_b32_e32 v22, v32
	v_mad_u64_u32 v[22:23], s[10:11], s17, v33, v[22:23]
	v_add_co_u32_e32 v33, vcc, v42, v20
	v_mov_b32_e32 v32, v22
	v_addc_co_u32_e32 v34, vcc, v43, v21, vcc
	v_lshlrev_b64 v[20:21], 4, v[31:32]
	v_add_co_u32_e32 v35, vcc, v42, v20
	v_addc_co_u32_e32 v36, vcc, v43, v21, vcc
	global_load_dwordx4 v[28:31], v[33:34], off
	global_load_dwordx4 v[20:23], v[35:36], off
                                        ; implicit-def: $vgpr32_vgpr33
                                        ; implicit-def: $vgpr36_vgpr37
	s_and_saveexec_b64 s[10:11], s[0:1]
	s_cbranch_execz .LBB0_24
; %bb.23:
	v_or_b32_e32 v36, 32, v113
	v_add_u32_e32 v38, 0x48, v113
	v_mad_u64_u32 v[32:33], s[12:13], s16, v36, 0
	v_mad_u64_u32 v[34:35], s[12:13], s16, v38, 0
	v_add_u32_e32 v52, 0x98, v113
	v_mad_u64_u32 v[36:37], s[12:13], s17, v36, v[33:34]
	v_mov_b32_e32 v33, v36
	v_mad_u64_u32 v[35:36], s[12:13], s17, v38, v[35:36]
	v_lshlrev_b64 v[32:33], 4, v[32:33]
	v_add_co_u32_e32 v40, vcc, v42, v32
	v_addc_co_u32_e32 v41, vcc, v43, v33, vcc
	v_lshlrev_b64 v[32:33], 4, v[34:35]
	v_or_b32_e32 v34, 0x70, v113
	v_mad_u64_u32 v[44:45], s[12:13], s16, v34, 0
	v_add_co_u32_e32 v46, vcc, v42, v32
	v_mov_b32_e32 v32, v45
	v_mad_u64_u32 v[49:50], s[12:13], s17, v34, v[32:33]
	v_mad_u64_u32 v[50:51], s[12:13], s16, v52, 0
	v_mov_b32_e32 v45, v49
	v_addc_co_u32_e32 v47, vcc, v43, v33, vcc
	global_load_dwordx4 v[32:35], v[40:41], off
	global_load_dwordx4 v[36:39], v[46:47], off
	v_lshlrev_b64 v[40:41], 4, v[44:45]
	v_mov_b32_e32 v44, v51
	v_mad_u64_u32 v[44:45], s[12:13], s17, v52, v[44:45]
	v_add_co_u32_e32 v52, vcc, v42, v40
	v_mov_b32_e32 v51, v44
	v_addc_co_u32_e32 v53, vcc, v43, v41, vcc
	v_lshlrev_b64 v[40:41], 4, v[50:51]
	v_add_co_u32_e32 v49, vcc, v42, v40
	v_addc_co_u32_e32 v50, vcc, v43, v41, vcc
	global_load_dwordx4 v[44:47], v[52:53], off
	global_load_dwordx4 v[40:43], v[49:50], off
.LBB0_24:
	s_or_b64 exec, exec, s[10:11]
	v_mov_b32_e32 v110, v48
.LBB0_25:
	s_or_b64 exec, exec, s[6:7]
.LBB0_26:
	s_waitcnt vmcnt(5)
	v_add_f64 v[48:49], v[0:1], -v[24:25]
	v_add_f64 v[50:51], v[2:3], -v[26:27]
	s_waitcnt vmcnt(4)
	v_add_f64 v[26:27], v[4:5], -v[12:13]
	v_add_f64 v[24:25], v[6:7], -v[14:15]
	;; [unrolled: 3-line block ×4, first 2 shown]
	v_fma_f64 v[0:1], v[0:1], 2.0, -v[48:49]
	v_fma_f64 v[2:3], v[2:3], 2.0, -v[50:51]
	;; [unrolled: 1-line block ×4, first 2 shown]
	v_add_f64 v[12:13], v[32:33], -v[44:45]
	v_add_f64 v[14:15], v[34:35], -v[46:47]
	v_fma_f64 v[60:61], v[8:9], 2.0, -v[52:53]
	v_fma_f64 v[8:9], v[18:19], 2.0, -v[58:59]
	v_add_f64 v[18:19], v[38:39], -v[42:43]
	v_add_f64 v[24:25], v[24:25], v[48:49]
	v_add_f64 v[20:21], v[0:1], -v[4:5]
	v_add_f64 v[22:23], v[2:3], -v[6:7]
	v_fma_f64 v[4:5], v[10:11], 2.0, -v[54:55]
	v_fma_f64 v[6:7], v[16:17], 2.0, -v[56:57]
	v_add_f64 v[16:17], v[36:37], -v[40:41]
	v_add_f64 v[26:27], v[50:51], -v[26:27]
	v_fma_f64 v[10:11], v[34:35], 2.0, -v[14:15]
	v_add_f64 v[44:45], v[58:59], v[52:53]
	v_fma_f64 v[28:29], v[0:1], 2.0, -v[20:21]
	v_fma_f64 v[30:31], v[2:3], 2.0, -v[22:23]
	v_add_f64 v[42:43], v[4:5], -v[8:9]
	v_add_f64 v[40:41], v[60:61], -v[6:7]
	v_fma_f64 v[8:9], v[32:33], 2.0, -v[12:13]
	v_fma_f64 v[0:1], v[36:37], 2.0, -v[16:17]
	;; [unrolled: 1-line block ×3, first 2 shown]
	v_add_f64 v[46:47], v[54:55], -v[56:57]
	v_fma_f64 v[32:33], v[48:49], 2.0, -v[24:25]
	v_fma_f64 v[34:35], v[50:51], 2.0, -v[26:27]
	;; [unrolled: 1-line block ×4, first 2 shown]
	v_add_f64 v[4:5], v[18:19], v[12:13]
	v_add_f64 v[0:1], v[8:9], -v[0:1]
	v_add_f64 v[2:3], v[10:11], -v[2:3]
	;; [unrolled: 1-line block ×3, first 2 shown]
	v_fma_f64 v[48:49], v[52:53], 2.0, -v[44:45]
	v_fma_f64 v[50:51], v[54:55], 2.0, -v[46:47]
	s_movk_i32 s6, 0x300
	v_mul_lo_u32 v19, v110, s6
	v_mul_u32_u24_e32 v16, 48, v113
	v_lshl_add_u32 v18, v16, 4, 0
	v_lshlrev_b32_e32 v16, 4, v114
	v_add_u32_e32 v17, v18, v16
	v_add_u32_e32 v19, 0, v19
	ds_write_b128 v17, v[28:31]
	ds_write_b128 v17, v[32:35] offset:192
	ds_write_b128 v17, v[20:23] offset:384
	ds_write_b128 v17, v[24:27] offset:576
	v_add_u32_e32 v17, v19, v16
	ds_write_b128 v17, v[36:39]
	ds_write_b128 v17, v[48:51] offset:192
	ds_write_b128 v17, v[40:43] offset:384
	;; [unrolled: 1-line block ×3, first 2 shown]
	s_and_saveexec_b64 s[6:7], s[0:1]
	s_cbranch_execz .LBB0_28
; %bb.27:
	v_fma_f64 v[10:11], v[10:11], 2.0, -v[2:3]
	v_fma_f64 v[8:9], v[8:9], 2.0, -v[0:1]
	;; [unrolled: 1-line block ×4, first 2 shown]
	v_lshl_add_u32 v17, v114, 4, v18
	ds_write_b128 v17, v[0:3] offset:24960
	ds_write_b128 v17, v[8:11] offset:24576
	ds_write_b128 v17, v[12:15] offset:24768
	ds_write_b128 v17, v[4:7] offset:25152
.LBB0_28:
	s_or_b64 exec, exec, s[6:7]
	v_and_b32_e32 v17, 3, v113
	v_mul_u32_u24_e32 v8, 9, v17
	v_lshlrev_b32_e32 v36, 4, v8
	s_waitcnt lgkmcnt(0)
	s_barrier
	global_load_dwordx4 v[8:11], v36, s[22:23]
	global_load_dwordx4 v[12:15], v36, s[22:23] offset:16
	global_load_dwordx4 v[20:23], v36, s[22:23] offset:32
	global_load_dwordx4 v[24:27], v36, s[22:23] offset:48
	global_load_dwordx4 v[28:31], v36, s[22:23] offset:64
	global_load_dwordx4 v[32:35], v36, s[22:23] offset:80
	global_load_dwordx4 v[37:40], v36, s[22:23] offset:112
	global_load_dwordx4 v[41:44], v36, s[22:23] offset:96
	global_load_dwordx4 v[45:48], v36, s[22:23] offset:128
	s_movk_i32 s6, 0xfdc0
	v_mul_lo_u32 v65, v110, s6
	v_mul_i32_i24_e32 v36, 0xfffffdc0, v113
	v_add3_u32 v36, v18, v36, v16
	ds_read_b128 v[49:52], v36 offset:9216
	ds_read_b128 v[53:56], v36 offset:12288
	;; [unrolled: 1-line block ×4, first 2 shown]
	v_add3_u32 v105, v19, v65, v16
	ds_read_b128 v[65:68], v105
	ds_read_b128 v[69:72], v36 offset:24576
	ds_read_b128 v[73:76], v36 offset:21504
	;; [unrolled: 1-line block ×3, first 2 shown]
	ds_read_b128 v[81:84], v36
	ds_read_b128 v[85:88], v36 offset:27648
	s_mov_b32 s24, 0x134454ff
	s_mov_b32 s25, 0xbfee6f0e
	;; [unrolled: 1-line block ×12, first 2 shown]
	s_waitcnt vmcnt(0) lgkmcnt(0)
	s_barrier
	v_mul_f64 v[18:19], v[67:68], v[10:11]
	v_mul_f64 v[10:11], v[65:66], v[10:11]
	;; [unrolled: 1-line block ×18, first 2 shown]
	v_fma_f64 v[18:19], v[65:66], v[8:9], v[18:19]
	v_fma_f64 v[8:9], v[67:68], v[8:9], -v[10:11]
	v_fma_f64 v[10:11], v[77:78], v[12:13], v[89:90]
	v_fma_f64 v[12:13], v[79:80], v[12:13], -v[14:15]
	;; [unrolled: 2-line block ×5, first 2 shown]
	v_fma_f64 v[30:31], v[61:62], v[32:33], v[97:98]
	v_fma_f64 v[49:50], v[69:70], v[37:38], v[99:100]
	v_fma_f64 v[32:33], v[63:64], v[32:33], -v[34:35]
	v_fma_f64 v[34:35], v[71:72], v[37:38], -v[39:40]
	v_fma_f64 v[37:38], v[73:74], v[41:42], v[101:102]
	v_fma_f64 v[39:40], v[75:76], v[41:42], -v[43:44]
	v_fma_f64 v[41:42], v[85:86], v[45:46], v[103:104]
	v_fma_f64 v[43:44], v[87:88], v[45:46], -v[47:48]
	v_add_f64 v[45:46], v[22:23], v[30:31]
	v_add_f64 v[47:48], v[10:11], v[49:50]
	;; [unrolled: 1-line block ×6, first 2 shown]
	v_add_f64 v[57:58], v[10:11], -v[22:23]
	v_add_f64 v[61:62], v[49:50], -v[30:31]
	;; [unrolled: 1-line block ×11, first 2 shown]
	v_fma_f64 v[45:46], v[45:46], -0.5, v[81:82]
	v_fma_f64 v[47:48], v[47:48], -0.5, v[81:82]
	;; [unrolled: 1-line block ×3, first 2 shown]
	v_add_f64 v[22:23], v[55:56], v[22:23]
	v_add_f64 v[24:25], v[59:60], v[24:25]
	v_fma_f64 v[53:54], v[53:54], -0.5, v[83:84]
	v_add_f64 v[73:74], v[32:33], -v[34:35]
	v_add_f64 v[79:80], v[26:27], v[37:38]
	v_add_f64 v[55:56], v[57:58], v[61:62]
	;; [unrolled: 1-line block ×6, first 2 shown]
	v_fma_f64 v[30:31], v[12:13], s[24:25], v[45:46]
	v_fma_f64 v[32:33], v[12:13], s[6:7], v[45:46]
	;; [unrolled: 1-line block ×7, first 2 shown]
	v_add_f64 v[85:86], v[20:21], -v[43:44]
	v_add_f64 v[89:90], v[14:15], v[41:42]
	v_add_f64 v[61:62], v[71:72], v[73:74]
	v_fma_f64 v[63:64], v[79:80], -0.5, v[18:19]
	v_fma_f64 v[53:54], v[75:76], s[6:7], v[53:54]
	v_add_f64 v[49:50], v[22:23], v[49:50]
	v_fma_f64 v[22:23], v[77:78], s[12:13], v[30:31]
	v_fma_f64 v[30:31], v[77:78], s[10:11], v[32:33]
	;; [unrolled: 1-line block ×4, first 2 shown]
	v_add_f64 v[24:25], v[24:25], v[34:35]
	v_fma_f64 v[34:35], v[75:76], s[10:11], v[65:66]
	v_fma_f64 v[45:46], v[75:76], s[12:13], v[51:52]
	;; [unrolled: 1-line block ×9, first 2 shown]
	v_add_f64 v[32:33], v[28:29], -v[39:40]
	v_fma_f64 v[34:35], v[59:60], s[14:15], v[34:35]
	v_fma_f64 v[57:58], v[85:86], s[6:7], v[63:64]
	;; [unrolled: 1-line block ×3, first 2 shown]
	v_fma_f64 v[45:46], v[89:90], -0.5, v[18:19]
	v_fma_f64 v[63:64], v[61:62], s[14:15], v[47:48]
	v_add_f64 v[47:48], v[28:29], v[39:40]
	v_add_f64 v[18:19], v[18:19], v[14:15]
	;; [unrolled: 1-line block ×3, first 2 shown]
	v_add_f64 v[87:88], v[14:15], -v[26:27]
	v_fma_f64 v[10:11], v[61:62], s[14:15], v[10:11]
	v_fma_f64 v[30:31], v[32:33], s[12:13], v[30:31]
	;; [unrolled: 1-line block ×5, first 2 shown]
	v_add_f64 v[45:46], v[26:27], -v[14:15]
	v_add_f64 v[65:66], v[37:38], -v[41:42]
	;; [unrolled: 1-line block ×3, first 2 shown]
	v_fma_f64 v[47:48], v[47:48], -0.5, v[8:9]
	v_add_f64 v[18:19], v[18:19], v[26:27]
	v_add_f64 v[69:70], v[20:21], -v[28:29]
	v_add_f64 v[71:72], v[43:44], -v[39:40]
	v_add_f64 v[73:74], v[8:9], v[20:21]
	v_add_f64 v[26:27], v[26:27], -v[37:38]
	v_fma_f64 v[8:9], v[67:68], -0.5, v[8:9]
	v_add_f64 v[45:46], v[45:46], v[65:66]
	v_fma_f64 v[65:66], v[14:15], s[6:7], v[47:48]
	v_add_f64 v[22:23], v[41:42], -v[37:38]
	v_add_f64 v[18:19], v[18:19], v[37:38]
	v_add_f64 v[37:38], v[69:70], v[71:72]
	;; [unrolled: 1-line block ×3, first 2 shown]
	v_add_f64 v[20:21], v[28:29], -v[20:21]
	v_add_f64 v[28:29], v[39:40], -v[43:44]
	v_fma_f64 v[69:70], v[26:27], s[24:25], v[8:9]
	v_fma_f64 v[8:9], v[26:27], s[6:7], v[8:9]
	;; [unrolled: 1-line block ×4, first 2 shown]
	v_add_f64 v[41:42], v[18:19], v[41:42]
	v_add_f64 v[18:19], v[67:68], v[39:40]
	;; [unrolled: 1-line block ×4, first 2 shown]
	v_fma_f64 v[39:40], v[14:15], s[10:11], v[69:70]
	v_fma_f64 v[8:9], v[14:15], s[12:13], v[8:9]
	;; [unrolled: 1-line block ×12, first 2 shown]
	v_mul_f64 v[45:46], v[28:29], s[12:13]
	v_fma_f64 v[20:21], v[37:38], s[14:15], v[26:27]
	v_mul_f64 v[28:29], v[28:29], s[26:27]
	v_add_f64 v[43:44], v[18:19], v[43:44]
	v_mul_f64 v[26:27], v[39:40], s[24:25]
	v_mul_f64 v[37:38], v[8:9], s[24:25]
	s_mov_b32 s25, 0xbfd3c6ef
	s_mov_b32 s24, s14
	v_mul_f64 v[39:40], v[39:40], s[14:15]
	v_fma_f64 v[45:46], v[14:15], s[26:27], v[45:46]
	s_mov_b32 s27, 0xbfe9e377
	v_mul_f64 v[8:9], v[8:9], s[24:25]
	v_mul_f64 v[47:48], v[20:21], s[12:13]
	;; [unrolled: 1-line block ×3, first 2 shown]
	v_fma_f64 v[14:15], v[14:15], s[10:11], v[28:29]
	v_fma_f64 v[57:58], v[22:23], s[14:15], v[26:27]
	;; [unrolled: 1-line block ×4, first 2 shown]
	v_add_f64 v[18:19], v[49:50], v[41:42]
	v_fma_f64 v[69:70], v[32:33], s[6:7], v[8:9]
	v_fma_f64 v[67:68], v[30:31], s[26:27], v[47:48]
	;; [unrolled: 1-line block ×3, first 2 shown]
	v_add_f64 v[20:21], v[24:25], v[43:44]
	v_add_f64 v[22:23], v[51:52], v[45:46]
	v_add_f64 v[32:33], v[24:25], -v[43:44]
	v_add_f64 v[24:25], v[34:35], v[14:15]
	v_add_f64 v[26:27], v[55:56], v[57:58]
	;; [unrolled: 1-line block ×4, first 2 shown]
	v_add_f64 v[43:44], v[34:35], -v[14:15]
	v_add_f64 v[39:40], v[10:11], v[69:70]
	v_lshrrev_b32_e32 v34, 2, v113
	v_add_f64 v[30:31], v[49:50], -v[41:42]
	v_add_f64 v[41:42], v[51:52], -v[45:46]
	v_add_f64 v[45:46], v[53:54], v[67:68]
	v_add_f64 v[47:48], v[59:60], v[71:72]
	v_mul_u32_u24_e32 v34, 40, v34
	v_or_b32_e32 v17, v34, v17
	v_mul_u32_u24_e32 v17, 0xc0, v17
	v_add_f64 v[49:50], v[55:56], -v[57:58]
	v_add_f64 v[51:52], v[63:64], -v[61:62]
	v_add3_u32 v16, 0, v17, v16
	v_add_f64 v[8:9], v[12:13], -v[65:66]
	v_add_f64 v[12:13], v[53:54], -v[67:68]
	;; [unrolled: 1-line block ×4, first 2 shown]
	ds_write_b128 v16, v[18:21]
	ds_write_b128 v16, v[22:25] offset:768
	ds_write_b128 v16, v[26:29] offset:1536
	;; [unrolled: 1-line block ×9, first 2 shown]
	s_waitcnt lgkmcnt(0)
	s_barrier
	ds_read_b128 v[32:35], v36
	ds_read_b128 v[48:51], v36 offset:7680
	ds_read_b128 v[44:47], v36 offset:15360
	ds_read_b128 v[28:31], v36 offset:10752
	ds_read_b128 v[40:43], v36 offset:23040
	ds_read_b128 v[24:27], v36 offset:18432
	ds_read_b128 v[16:19], v105
	ds_read_b128 v[20:23], v36 offset:26112
	s_and_saveexec_b64 s[6:7], s[0:1]
	s_cbranch_execz .LBB0_30
; %bb.29:
	v_add_u32_e32 v4, 0x1800, v36
	ds_read_b128 v[12:15], v36 offset:13824
	ds_read_b128 v[0:3], v36 offset:21504
	ds_read_b128 v[8:11], v4
	ds_read_b128 v[4:7], v36 offset:29184
.LBB0_30:
	s_or_b64 exec, exec, s[6:7]
	v_mul_u32_u24_e32 v36, 3, v113
	v_lshlrev_b32_e32 v36, 4, v36
	global_load_dwordx4 v[62:65], v36, s[22:23] offset:576
	global_load_dwordx4 v[66:69], v36, s[22:23] offset:592
	s_mov_b32 s7, 0xcccccccd
	v_mul_lo_u32 v89, v113, v108
	v_mul_hi_u32 v37, v110, s7
	global_load_dwordx4 v[70:73], v36, s[22:23] offset:608
	s_add_i32 s6, 0, 0x7800
	v_and_b32_e32 v36, 31, v89
	v_lshrrev_b32_e32 v38, 1, v89
	v_lshrrev_b32_e32 v116, 5, v37
	v_lshl_add_u32 v36, v36, 4, 0
	v_and_b32_e32 v37, 0x1f0, v38
	v_mul_lo_u32 v60, v108, 40
	v_add_u32_e32 v37, s6, v37
	ds_read_b128 v[52:55], v36 offset:30720
	ds_read_b128 v[56:59], v37 offset:512
	v_mov_b32_e32 v82, 0
	v_add_u32_e32 v39, v89, v60
	v_and_b32_e32 v38, 31, v39
	v_lshrrev_b32_e32 v61, 1, v39
	s_waitcnt lgkmcnt(0)
	v_mul_f64 v[83:84], v[54:55], v[58:59]
	v_mul_f64 v[58:59], v[52:53], v[58:59]
	v_lshl_add_u32 v37, v38, 4, 0
	v_and_b32_e32 v38, 0x1f0, v61
	ds_read_b128 v[74:77], v37 offset:30720
	v_add_u32_e32 v37, s6, v38
	ds_read_b128 v[78:81], v37 offset:512
	v_lshrrev_b32_e32 v36, 6, v39
	v_fma_f64 v[83:84], v[52:53], v[56:57], -v[83:84]
	v_fma_f64 v[85:86], v[54:55], v[56:57], v[58:59]
	v_add_u32_e32 v90, v39, v60
	s_waitcnt lgkmcnt(0)
	v_mul_f64 v[52:53], v[76:77], v[80:81]
	v_mul_f64 v[54:55], v[74:75], v[80:81]
	v_and_b32_e32 v36, 0x1f0, v36
	v_and_b32_e32 v56, 31, v90
	v_lshrrev_b32_e32 v57, 1, v90
	v_add_u32_e32 v36, s6, v36
	v_mul_lo_u32 v61, v116, 40
	v_lshl_add_u32 v80, v56, 4, 0
	v_and_b32_e32 v56, 0x1f0, v57
	ds_read_b128 v[36:39], v36 offset:1024
	v_add_u32_e32 v81, s6, v56
	v_fma_f64 v[56:57], v[74:75], v[78:79], -v[52:53]
	v_fma_f64 v[58:59], v[76:77], v[78:79], v[54:55]
	ds_read_b128 v[52:55], v80 offset:30720
	ds_read_b128 v[74:77], v81 offset:512
	v_sub_u32_e32 v61, v110, v61
	v_lshl_add_u32 v81, v61, 1, v61
	v_lshlrev_b64 v[78:79], 4, v[81:82]
	v_mov_b32_e32 v87, s23
	s_waitcnt lgkmcnt(0)
	v_mul_f64 v[80:81], v[54:55], v[76:77]
	v_mul_f64 v[76:77], v[52:53], v[76:77]
	v_add_co_u32_e32 v78, vcc, s22, v78
	v_addc_co_u32_e32 v79, vcc, v87, v79, vcc
	v_or_b32_e32 v115, 32, v113
	s_mov_b32 s7, 0x6666667
	v_fma_f64 v[52:53], v[52:53], v[74:75], -v[80:81]
	v_fma_f64 v[54:55], v[54:55], v[74:75], v[76:77]
	global_load_dwordx4 v[74:77], v[78:79], off offset:576
	v_add_u32_e32 v82, v90, v60
	v_mul_lo_u32 v61, v61, v108
	s_andn2_b64 vcc, exec, s[2:3]
	s_waitcnt vmcnt(3)
	v_mul_f64 v[80:81], v[50:51], v[64:65]
	v_mul_f64 v[64:65], v[48:49], v[64:65]
	s_waitcnt vmcnt(2)
	v_mul_f64 v[87:88], v[46:47], v[68:69]
	v_mul_f64 v[68:69], v[44:45], v[68:69]
	v_fma_f64 v[80:81], v[48:49], v[62:63], v[80:81]
	v_fma_f64 v[49:50], v[50:51], v[62:63], -v[64:65]
	global_load_dwordx4 v[62:65], v[78:79], off offset:592
	v_fma_f64 v[87:88], v[44:45], v[66:67], v[87:88]
	v_fma_f64 v[66:67], v[46:47], v[66:67], -v[68:69]
	global_load_dwordx4 v[44:47], v[78:79], off offset:608
	s_waitcnt vmcnt(3)
	v_mul_f64 v[68:69], v[42:43], v[72:73]
	v_mul_f64 v[72:73], v[40:41], v[72:73]
	v_lshrrev_b32_e32 v48, 6, v89
	v_and_b32_e32 v48, 0x1f0, v48
	v_add_u32_e32 v48, s6, v48
	v_add_f64 v[78:79], v[32:33], -v[87:88]
	v_add_f64 v[66:67], v[34:35], -v[66:67]
	v_lshrrev_b32_e32 v51, 6, v90
	v_fma_f64 v[68:69], v[40:41], v[70:71], v[68:69]
	v_fma_f64 v[70:71], v[42:43], v[70:71], -v[72:73]
	ds_read_b128 v[40:43], v48 offset:1024
	v_mul_hi_u32 v48, v115, s7
	v_and_b32_e32 v87, 31, v82
	v_fma_f64 v[32:33], v[32:33], 2.0, -v[78:79]
	v_fma_f64 v[34:35], v[34:35], 2.0, -v[66:67]
	s_waitcnt lgkmcnt(0)
	v_mul_f64 v[72:73], v[85:86], v[42:43]
	v_mul_f64 v[42:43], v[83:84], v[42:43]
	v_add_f64 v[68:69], v[80:81], -v[68:69]
	v_mul_u32_u24_e32 v48, 40, v48
	v_sub_u32_e32 v48, v115, v48
	v_lshl_add_u32 v87, v87, 4, 0
	v_fma_f64 v[72:73], v[40:41], v[83:84], -v[72:73]
	v_fma_f64 v[40:41], v[40:41], v[85:86], v[42:43]
	v_add_f64 v[42:43], v[49:50], -v[70:71]
	v_and_b32_e32 v84, 0x1f0, v51
	v_fma_f64 v[80:81], v[80:81], 2.0, -v[68:69]
	v_mul_u32_u24_e32 v83, 3, v48
	v_lshrrev_b32_e32 v85, 1, v82
	v_lshrrev_b32_e32 v82, 6, v82
	v_add_u32_e32 v86, s6, v84
	v_and_b32_e32 v88, 0x1f0, v85
	v_fma_f64 v[50:51], v[49:50], 2.0, -v[42:43]
	v_lshlrev_b32_e32 v49, 4, v83
	v_add_f64 v[80:81], v[32:33], -v[80:81]
	v_and_b32_e32 v89, 0x1f0, v82
	v_add_u32_e32 v92, s6, v89
	v_add_f64 v[68:69], v[66:67], -v[68:69]
	v_add_f64 v[90:91], v[78:79], v[42:43]
	v_fma_f64 v[84:85], v[32:33], 2.0, -v[80:81]
	s_waitcnt vmcnt(2)
	v_mul_f64 v[70:71], v[30:31], v[76:77]
	v_mul_f64 v[76:77], v[28:29], v[76:77]
	v_add_u32_e32 v32, s6, v88
	v_fma_f64 v[42:43], v[66:67], 2.0, -v[68:69]
	v_fma_f64 v[70:71], v[28:29], v[74:75], v[70:71]
	v_fma_f64 v[74:75], v[30:31], v[74:75], -v[76:77]
	v_add_f64 v[76:77], v[34:35], -v[50:51]
	v_fma_f64 v[82:83], v[34:35], 2.0, -v[76:77]
	s_waitcnt vmcnt(1)
	v_mul_f64 v[28:29], v[26:27], v[64:65]
	v_mul_f64 v[30:31], v[24:25], v[64:65]
	s_waitcnt vmcnt(0)
	v_mul_f64 v[50:51], v[22:23], v[46:47]
	v_mul_f64 v[46:47], v[20:21], v[46:47]
	v_fma_f64 v[64:65], v[24:25], v[62:63], v[28:29]
	v_fma_f64 v[62:63], v[26:27], v[62:63], -v[30:31]
	ds_read_b128 v[28:31], v86 offset:1024
	ds_read_b128 v[24:27], v87 offset:30720
	v_fma_f64 v[86:87], v[20:21], v[44:45], v[50:51]
	v_mul_f64 v[20:21], v[82:83], v[40:41]
	v_mul_f64 v[40:41], v[84:85], v[40:41]
	v_fma_f64 v[88:89], v[22:23], v[44:45], -v[46:47]
	v_mul_f64 v[46:47], v[56:57], v[38:39]
	v_mul_f64 v[50:51], v[58:59], v[38:39]
	ds_read_b128 v[32:35], v32 offset:512
	v_add_f64 v[44:45], v[16:17], -v[64:65]
	v_fma_f64 v[64:65], v[78:79], 2.0, -v[90:91]
	v_fma_f64 v[20:21], v[84:85], v[72:73], v[20:21]
	v_fma_f64 v[22:23], v[82:83], v[72:73], -v[40:41]
	ds_read_b128 v[38:41], v92 offset:1024
	s_waitcnt lgkmcnt(1)
	v_mul_f64 v[66:67], v[26:27], v[34:35]
	v_fma_f64 v[58:59], v[36:37], v[58:59], v[46:47]
	v_mul_f64 v[34:35], v[24:25], v[34:35]
	v_fma_f64 v[50:51], v[36:37], v[56:57], -v[50:51]
	v_mul_f64 v[36:37], v[52:53], v[30:31]
	v_add_f64 v[46:47], v[18:19], -v[62:63]
	v_fma_f64 v[62:63], v[16:17], 2.0, -v[44:45]
	v_add_f64 v[84:85], v[70:71], -v[86:87]
	v_fma_f64 v[56:57], v[24:25], v[32:33], -v[66:67]
	v_mul_f64 v[16:17], v[42:43], v[58:59]
	v_fma_f64 v[72:73], v[26:27], v[32:33], v[34:35]
	v_and_b32_e32 v24, 31, v61
	v_lshrrev_b32_e32 v25, 1, v61
	v_lshl_add_u32 v24, v24, 4, 0
	v_and_b32_e32 v25, 0x1f0, v25
	v_mul_f64 v[66:67], v[54:55], v[30:31]
	v_fma_f64 v[54:55], v[28:29], v[54:55], v[36:37]
	v_add_u32_e32 v25, s6, v25
	ds_read_b128 v[30:33], v24 offset:30720
	ds_read_b128 v[34:37], v25 offset:512
	v_mul_f64 v[58:59], v[64:65], v[58:59]
	s_waitcnt lgkmcnt(2)
	v_mul_f64 v[78:79], v[56:57], v[40:41]
	v_fma_f64 v[24:25], v[64:65], v[50:51], v[16:17]
	v_mul_f64 v[16:17], v[72:73], v[40:41]
	s_waitcnt lgkmcnt(0)
	v_mul_f64 v[40:41], v[32:33], v[36:37]
	v_mul_f64 v[36:37], v[30:31], v[36:37]
	v_fma_f64 v[64:65], v[18:19], 2.0, -v[46:47]
	v_fma_f64 v[18:19], v[28:29], v[52:53], -v[66:67]
	v_lshrrev_b32_e32 v28, 6, v61
	v_add_u32_e32 v61, v61, v60
	v_fma_f64 v[26:27], v[42:43], v[50:51], -v[58:59]
	v_fma_f64 v[58:59], v[38:39], v[72:73], v[78:79]
	v_and_b32_e32 v28, 0x1f0, v28
	v_fma_f64 v[78:79], v[32:33], v[34:35], v[36:37]
	v_lshrrev_b32_e32 v36, 1, v61
	v_and_b32_e32 v29, 31, v61
	v_and_b32_e32 v36, 0x1f0, v36
	v_add_u32_e32 v28, s6, v28
	v_lshl_add_u32 v32, v29, 4, 0
	v_add_u32_e32 v36, s6, v36
	v_fma_f64 v[72:73], v[30:31], v[34:35], -v[40:41]
	ds_read_b128 v[28:31], v28 offset:1024
	ds_read_b128 v[32:35], v32 offset:30720
	;; [unrolled: 1-line block ×3, first 2 shown]
	v_mul_f64 v[66:67], v[76:77], v[54:55]
	v_mul_f64 v[54:55], v[80:81], v[54:55]
	v_lshrrev_b32_e32 v36, 6, v61
	v_and_b32_e32 v36, 0x1f0, v36
	s_waitcnt lgkmcnt(0)
	v_mul_f64 v[82:83], v[34:35], v[42:43]
	v_mul_f64 v[42:43], v[32:33], v[42:43]
	v_add_u32_e32 v36, s6, v36
	ds_read_b128 v[50:53], v36 offset:1024
	v_fma_f64 v[36:37], v[80:81], v[18:19], v[66:67]
	v_add_u32_e32 v61, v61, v60
	v_fma_f64 v[56:57], v[38:39], v[56:57], -v[16:17]
	v_mul_f64 v[16:17], v[68:69], v[58:59]
	v_fma_f64 v[38:39], v[76:77], v[18:19], -v[54:55]
	v_fma_f64 v[66:67], v[34:35], v[40:41], v[42:43]
	v_mul_f64 v[18:19], v[90:91], v[58:59]
	v_fma_f64 v[54:55], v[32:33], v[40:41], -v[82:83]
	v_lshrrev_b32_e32 v33, 1, v61
	v_and_b32_e32 v32, 31, v61
	v_and_b32_e32 v33, 0x1f0, v33
	v_add_f64 v[86:87], v[74:75], -v[88:89]
	v_lshl_add_u32 v32, v32, 4, 0
	v_add_u32_e32 v40, s6, v33
	v_mul_f64 v[58:59], v[78:79], v[30:31]
	v_mul_f64 v[30:31], v[72:73], v[30:31]
	ds_read_b128 v[32:35], v32 offset:30720
	ds_read_b128 v[40:43], v40 offset:512
	s_waitcnt lgkmcnt(2)
	v_mul_f64 v[76:77], v[66:67], v[52:53]
	v_fma_f64 v[16:17], v[90:91], v[56:57], v[16:17]
	v_fma_f64 v[18:19], v[68:69], v[56:57], -v[18:19]
	v_fma_f64 v[68:69], v[70:71], 2.0, -v[84:85]
	s_waitcnt lgkmcnt(0)
	v_mul_f64 v[56:57], v[34:35], v[42:43]
	v_mul_f64 v[42:43], v[32:33], v[42:43]
	v_fma_f64 v[70:71], v[74:75], 2.0, -v[86:87]
	v_fma_f64 v[74:75], v[28:29], v[78:79], v[30:31]
	v_lshrrev_b32_e32 v30, 6, v61
	v_and_b32_e32 v30, 0x1f0, v30
	v_add_u32_e32 v30, s6, v30
	v_fma_f64 v[72:73], v[28:29], v[72:73], -v[58:59]
	v_fma_f64 v[76:77], v[50:51], v[54:55], -v[76:77]
	v_mul_f64 v[28:29], v[54:55], v[52:53]
	ds_read_b128 v[52:55], v30 offset:1024
	v_add_u32_e32 v30, v61, v60
	v_and_b32_e32 v31, 31, v30
	v_lshl_add_u32 v31, v31, 4, 0
	v_fma_f64 v[78:79], v[32:33], v[40:41], -v[56:57]
	v_fma_f64 v[80:81], v[34:35], v[40:41], v[42:43]
	ds_read_b128 v[32:35], v31 offset:30720
	v_lshrrev_b32_e32 v31, 1, v30
	v_and_b32_e32 v31, 0x1f0, v31
	v_add_u32_e32 v31, s6, v31
	ds_read_b128 v[40:43], v31 offset:512
	v_lshrrev_b32_e32 v30, 6, v30
	v_and_b32_e32 v30, 0x1f0, v30
	v_add_u32_e32 v30, s6, v30
	ds_read_b128 v[56:59], v30 offset:1024
	s_waitcnt lgkmcnt(3)
	v_mul_f64 v[82:83], v[80:81], v[54:55]
	s_waitcnt lgkmcnt(1)
	v_mul_f64 v[88:89], v[34:35], v[42:43]
	v_mul_f64 v[42:43], v[32:33], v[42:43]
	v_fma_f64 v[50:51], v[50:51], v[66:67], v[28:29]
	global_load_dwordx4 v[28:31], v49, s[22:23] offset:608
	v_add_f64 v[66:67], v[62:63], -v[68:69]
	v_add_f64 v[68:69], v[64:65], -v[70:71]
	v_mul_f64 v[54:55], v[78:79], v[54:55]
	v_fma_f64 v[70:71], v[52:53], v[78:79], -v[82:83]
	v_fma_f64 v[78:79], v[32:33], v[40:41], -v[88:89]
	v_add_f64 v[82:83], v[44:45], v[86:87]
	v_fma_f64 v[86:87], v[34:35], v[40:41], v[42:43]
	global_load_dwordx4 v[32:35], v49, s[22:23] offset:592
	global_load_dwordx4 v[40:43], v49, s[22:23] offset:576
	v_add_f64 v[84:85], v[46:47], -v[84:85]
	v_fma_f64 v[64:65], v[64:65], 2.0, -v[68:69]
	v_fma_f64 v[52:53], v[52:53], v[80:81], v[54:55]
	v_fma_f64 v[61:62], v[62:63], 2.0, -v[66:67]
	s_waitcnt lgkmcnt(0)
	v_mul_f64 v[54:55], v[78:79], v[58:59]
	v_fma_f64 v[44:45], v[44:45], 2.0, -v[82:83]
	v_mul_f64 v[58:59], v[86:87], v[58:59]
	v_fma_f64 v[46:47], v[46:47], 2.0, -v[84:85]
	v_mul_f64 v[80:81], v[64:65], v[74:75]
	v_mul_f64 v[74:75], v[61:62], v[74:75]
	v_fma_f64 v[54:55], v[56:57], v[86:87], v[54:55]
	v_fma_f64 v[56:57], v[56:57], v[78:79], -v[58:59]
	v_mul_f64 v[58:59], v[68:69], v[52:53]
	v_mul_f64 v[86:87], v[46:47], v[50:51]
	;; [unrolled: 1-line block ×3, first 2 shown]
	v_fma_f64 v[104:105], v[61:62], v[72:73], v[80:81]
	v_mul_f64 v[51:52], v[66:67], v[52:53]
	v_mul_f64 v[61:62], v[84:85], v[54:55]
	;; [unrolled: 1-line block ×3, first 2 shown]
	v_fma_f64 v[106:107], v[64:65], v[72:73], -v[74:75]
	v_fma_f64 v[96:97], v[66:67], v[70:71], v[58:59]
	v_fma_f64 v[100:101], v[44:45], v[76:77], v[86:87]
	v_mul_lo_u32 v44, v48, v108
	v_fma_f64 v[102:103], v[46:47], v[76:77], -v[49:50]
	v_fma_f64 v[98:99], v[68:69], v[70:71], -v[51:52]
	v_fma_f64 v[92:93], v[82:83], v[56:57], v[61:62]
	v_and_b32_e32 v45, 31, v44
	v_lshrrev_b32_e32 v46, 1, v44
	v_lshl_add_u32 v45, v45, 4, 0
	v_and_b32_e32 v46, 0x1f0, v46
	v_add_u32_e32 v61, v44, v60
	v_fma_f64 v[94:95], v[84:85], v[56:57], -v[53:54]
	v_add_u32_e32 v46, s6, v46
	ds_read_b128 v[52:55], v45 offset:30720
	ds_read_b128 v[56:59], v46 offset:512
	v_lshrrev_b32_e32 v45, 6, v44
	v_and_b32_e32 v44, 31, v61
	v_lshrrev_b32_e32 v62, 1, v61
	v_lshrrev_b32_e32 v63, 6, v61
	v_add_u32_e32 v61, v61, v60
	v_add_u32_e32 v60, v61, v60
	v_and_b32_e32 v64, 31, v61
	v_lshrrev_b32_e32 v65, 1, v61
	v_lshrrev_b32_e32 v66, 6, v61
	v_and_b32_e32 v61, 31, v60
	v_lshrrev_b32_e32 v67, 1, v60
	v_lshrrev_b32_e32 v60, 6, v60
	v_and_b32_e32 v45, 0x1f0, v45
	v_and_b32_e32 v62, 0x1f0, v62
	;; [unrolled: 1-line block ×7, first 2 shown]
	v_add_u32_e32 v45, s6, v45
	v_lshl_add_u32 v48, v44, 4, 0
	v_add_u32_e32 v62, s6, v62
	v_add_u32_e32 v63, s6, v63
	v_lshl_add_u32 v64, v64, 4, 0
	v_add_u32_e32 v65, s6, v65
	;; [unrolled: 3-line block ×3, first 2 shown]
	v_add_u32_e32 v60, s6, v60
	ds_read_b128 v[44:47], v45 offset:1024
	ds_read_b128 v[48:51], v48 offset:30720
	;; [unrolled: 1-line block ×10, first 2 shown]
	s_cbranch_vccnz .LBB0_32
; %bb.31:
	v_mad_u64_u32 v[111:112], s[2:3], s18, v114, 0
	v_mad_u64_u32 v[117:118], s[2:3], s16, v113, 0
	v_mad_u64_u32 v[119:120], s[2:3], s19, v114, v[112:113]
	v_mov_b32_e32 v112, v118
	v_mad_u64_u32 v[120:121], s[2:3], s17, v113, v[112:113]
	v_mov_b32_e32 v112, v119
	s_lshl_b64 s[2:3], s[4:5], 4
	s_add_u32 s2, s20, s2
	v_lshlrev_b64 v[111:112], 4, v[111:112]
	s_addc_u32 s3, s21, s3
	v_mov_b32_e32 v119, s3
	v_add_co_u32_e32 v111, vcc, s2, v111
	v_add_u32_e32 v121, 40, v113
	v_mov_b32_e32 v118, v120
	v_addc_co_u32_e32 v112, vcc, v119, v112, vcc
	v_mad_u64_u32 v[119:120], s[2:3], s16, v121, 0
	v_add_u32_e32 v123, 0x50, v113
	v_lshlrev_b64 v[117:118], 4, v[117:118]
	v_mad_u64_u32 v[120:121], s[2:3], s17, v121, v[120:121]
	v_mad_u64_u32 v[121:122], s[2:3], s16, v123, 0
	v_add_co_u32_e32 v117, vcc, v111, v117
	v_addc_co_u32_e32 v118, vcc, v112, v118, vcc
	global_store_dwordx4 v[117:118], v[20:23], off
	v_lshlrev_b64 v[117:118], 4, v[119:120]
	v_mov_b32_e32 v119, v122
	v_mad_u64_u32 v[119:120], s[2:3], s17, v123, v[119:120]
	v_add_co_u32_e32 v117, vcc, v111, v117
	v_addc_co_u32_e32 v118, vcc, v112, v118, vcc
	v_mov_b32_e32 v122, v119
	global_store_dwordx4 v[117:118], v[24:27], off
	v_lshlrev_b64 v[117:118], 4, v[121:122]
	v_add_u32_e32 v121, 0x78, v113
	v_mad_u64_u32 v[119:120], s[2:3], s16, v121, 0
	v_add_co_u32_e32 v117, vcc, v111, v117
	v_addc_co_u32_e32 v118, vcc, v112, v118, vcc
	global_store_dwordx4 v[117:118], v[36:39], off
	v_mov_b32_e32 v117, v120
	v_mad_u64_u32 v[117:118], s[2:3], s17, v121, v[117:118]
	s_movk_i32 s2, 0x78
	v_mad_u64_u32 v[121:122], s[2:3], v116, s2, v[110:111]
	v_mov_b32_e32 v120, v117
	v_lshlrev_b64 v[117:118], 4, v[119:120]
	v_mad_u64_u32 v[119:120], s[2:3], s16, v121, 0
	v_add_u32_e32 v125, 40, v121
	v_add_co_u32_e32 v117, vcc, v111, v117
	v_mad_u64_u32 v[122:123], s[2:3], s17, v121, v[120:121]
	v_mad_u64_u32 v[123:124], s[2:3], s16, v125, 0
	v_addc_co_u32_e32 v118, vcc, v112, v118, vcc
	v_mov_b32_e32 v120, v122
	global_store_dwordx4 v[117:118], v[16:19], off
	v_lshlrev_b64 v[117:118], 4, v[119:120]
	v_mov_b32_e32 v119, v124
	v_mad_u64_u32 v[119:120], s[2:3], s17, v125, v[119:120]
	v_add_u32_e32 v122, 0x50, v121
	v_add_co_u32_e32 v117, vcc, v111, v117
	v_mov_b32_e32 v124, v119
	v_mad_u64_u32 v[119:120], s[2:3], s16, v122, 0
	v_addc_co_u32_e32 v118, vcc, v112, v118, vcc
	global_store_dwordx4 v[117:118], v[104:107], off
	v_lshlrev_b64 v[117:118], 4, v[123:124]
	v_mad_u64_u32 v[122:123], s[2:3], s17, v122, v[120:121]
	v_add_u32_e32 v121, 0x78, v121
	v_mad_u64_u32 v[123:124], s[2:3], s16, v121, 0
	v_add_co_u32_e32 v117, vcc, v111, v117
	v_addc_co_u32_e32 v118, vcc, v112, v118, vcc
	v_mov_b32_e32 v120, v122
	global_store_dwordx4 v[117:118], v[100:103], off
	v_lshlrev_b64 v[117:118], 4, v[119:120]
	v_mov_b32_e32 v119, v124
	v_mad_u64_u32 v[119:120], s[2:3], s17, v121, v[119:120]
	v_add_co_u32_e32 v117, vcc, v111, v117
	v_addc_co_u32_e32 v118, vcc, v112, v118, vcc
	v_mov_b32_e32 v124, v119
	global_store_dwordx4 v[117:118], v[96:99], off
	v_lshlrev_b64 v[117:118], 4, v[123:124]
	v_add_co_u32_e32 v117, vcc, v111, v117
	v_addc_co_u32_e32 v118, vcc, v112, v118, vcc
	s_and_b64 s[2:3], s[0:1], exec
	global_store_dwordx4 v[117:118], v[92:95], off
	s_cbranch_execz .LBB0_33
	s_branch .LBB0_36
.LBB0_32:
	s_mov_b64 s[2:3], 0
                                        ; implicit-def: $vgpr111_vgpr112
.LBB0_33:
	v_cmp_gt_u64_e32 vcc, s[8:9], v[108:109]
                                        ; implicit-def: $vgpr111_vgpr112
	s_and_saveexec_b64 s[6:7], vcc
	s_cbranch_execz .LBB0_35
; %bb.34:
	v_mad_u64_u32 v[108:109], s[8:9], s18, v114, 0
	v_mad_u64_u32 v[117:118], s[8:9], s16, v113, 0
	v_mad_u64_u32 v[111:112], s[8:9], s19, v114, v[109:110]
	v_mov_b32_e32 v109, v118
	v_mad_u64_u32 v[118:119], s[8:9], s17, v113, v[109:110]
	v_mov_b32_e32 v109, v111
	s_lshl_b64 s[4:5], s[4:5], 4
	s_add_u32 s4, s20, s4
	v_lshlrev_b64 v[108:109], 4, v[108:109]
	s_addc_u32 s5, s21, s5
	v_mov_b32_e32 v112, s5
	v_add_co_u32_e32 v111, vcc, s4, v108
	v_add_u32_e32 v119, 40, v113
	v_addc_co_u32_e32 v112, vcc, v112, v109, vcc
	v_lshlrev_b64 v[108:109], 4, v[117:118]
	v_mad_u64_u32 v[117:118], s[4:5], s16, v119, 0
	v_add_co_u32_e32 v108, vcc, v111, v108
	v_mov_b32_e32 v114, v118
	v_mad_u64_u32 v[118:119], s[4:5], s17, v119, v[114:115]
	v_add_u32_e32 v114, 0x50, v113
	v_mad_u64_u32 v[119:120], s[4:5], s16, v114, 0
	v_addc_co_u32_e32 v109, vcc, v112, v109, vcc
	global_store_dwordx4 v[108:109], v[20:23], off
	s_andn2_b64 s[2:3], s[2:3], exec
	v_mov_b32_e32 v22, v120
	v_lshlrev_b64 v[20:21], 4, v[117:118]
	v_mad_u64_u32 v[22:23], s[4:5], s17, v114, v[22:23]
	v_add_co_u32_e32 v20, vcc, v111, v20
	v_addc_co_u32_e32 v21, vcc, v112, v21, vcc
	global_store_dwordx4 v[20:21], v[24:27], off
	v_mov_b32_e32 v120, v22
	v_add_u32_e32 v24, 0x78, v113
	v_lshlrev_b64 v[20:21], 4, v[119:120]
	v_mad_u64_u32 v[22:23], s[4:5], s16, v24, 0
	v_add_co_u32_e32 v20, vcc, v111, v20
	v_addc_co_u32_e32 v21, vcc, v112, v21, vcc
	global_store_dwordx4 v[20:21], v[36:39], off
	v_mov_b32_e32 v20, v23
	v_mad_u64_u32 v[20:21], s[4:5], s17, v24, v[20:21]
	s_movk_i32 s4, 0x78
	v_mad_u64_u32 v[24:25], s[4:5], v116, s4, v[110:111]
	v_mov_b32_e32 v23, v20
	v_lshlrev_b64 v[20:21], 4, v[22:23]
	v_mad_u64_u32 v[22:23], s[4:5], s16, v24, 0
	v_add_u32_e32 v36, 40, v24
	v_add_co_u32_e32 v20, vcc, v111, v20
	v_mad_u64_u32 v[25:26], s[4:5], s17, v24, v[23:24]
	v_mad_u64_u32 v[26:27], s[4:5], s16, v36, 0
	v_addc_co_u32_e32 v21, vcc, v112, v21, vcc
	global_store_dwordx4 v[20:21], v[16:19], off
	v_add_u32_e32 v20, 0x50, v24
	v_mov_b32_e32 v18, v27
	v_mad_u64_u32 v[18:19], s[4:5], s17, v36, v[18:19]
	v_mov_b32_e32 v23, v25
	v_lshlrev_b64 v[16:17], 4, v[22:23]
	v_mov_b32_e32 v27, v18
	v_mad_u64_u32 v[18:19], s[4:5], s16, v20, 0
	v_add_co_u32_e32 v16, vcc, v111, v16
	v_addc_co_u32_e32 v17, vcc, v112, v17, vcc
	v_mad_u64_u32 v[19:20], s[4:5], s17, v20, v[19:20]
	v_add_u32_e32 v22, 0x78, v24
	global_store_dwordx4 v[16:17], v[104:107], off
	v_lshlrev_b64 v[16:17], 4, v[26:27]
	v_mad_u64_u32 v[20:21], s[4:5], s16, v22, 0
	v_add_co_u32_e32 v16, vcc, v111, v16
	v_addc_co_u32_e32 v17, vcc, v112, v17, vcc
	global_store_dwordx4 v[16:17], v[100:103], off
	v_lshlrev_b64 v[16:17], 4, v[18:19]
	v_mov_b32_e32 v18, v21
	v_mad_u64_u32 v[18:19], s[4:5], s17, v22, v[18:19]
	v_add_co_u32_e32 v16, vcc, v111, v16
	v_addc_co_u32_e32 v17, vcc, v112, v17, vcc
	v_mov_b32_e32 v21, v18
	global_store_dwordx4 v[16:17], v[96:99], off
	v_lshlrev_b64 v[16:17], 4, v[20:21]
	s_and_b64 s[0:1], s[0:1], exec
	v_add_co_u32_e32 v16, vcc, v111, v16
	v_addc_co_u32_e32 v17, vcc, v112, v17, vcc
	s_or_b64 s[2:3], s[2:3], s[0:1]
	global_store_dwordx4 v[16:17], v[92:95], off
.LBB0_35:
	s_or_b64 exec, exec, s[6:7]
.LBB0_36:
	s_and_saveexec_b64 s[0:1], s[2:3]
	s_cbranch_execnz .LBB0_38
; %bb.37:
	s_endpgm
.LBB0_38:
	s_waitcnt vmcnt(0)
	v_mul_f64 v[16:17], v[14:15], v[42:43]
	v_mul_f64 v[18:19], v[12:13], v[42:43]
	;; [unrolled: 1-line block ×6, first 2 shown]
	v_fma_f64 v[12:13], v[12:13], v[40:41], v[16:17]
	v_fma_f64 v[14:15], v[14:15], v[40:41], -v[18:19]
	v_fma_f64 v[0:1], v[0:1], v[32:33], v[20:21]
	v_fma_f64 v[2:3], v[2:3], v[32:33], -v[22:23]
	;; [unrolled: 2-line block ×3, first 2 shown]
	s_waitcnt lgkmcnt(10)
	v_mul_f64 v[16:17], v[54:55], v[58:59]
	v_mul_f64 v[18:19], v[52:53], v[58:59]
	s_waitcnt lgkmcnt(7)
	v_mul_f64 v[20:21], v[50:51], v[90:91]
	s_waitcnt lgkmcnt(4)
	v_mul_f64 v[24:25], v[82:83], v[86:87]
	v_add_f64 v[0:1], v[8:9], -v[0:1]
	v_add_f64 v[2:3], v[10:11], -v[2:3]
	v_add_f64 v[4:5], v[12:13], -v[4:5]
	v_add_f64 v[6:7], v[14:15], -v[6:7]
	v_fma_f64 v[16:17], v[52:53], v[56:57], -v[16:17]
	v_mul_f64 v[22:23], v[48:49], v[90:91]
	v_fma_f64 v[18:19], v[54:55], v[56:57], v[18:19]
	s_waitcnt lgkmcnt(1)
	v_mul_f64 v[28:29], v[74:75], v[78:79]
	v_fma_f64 v[8:9], v[8:9], 2.0, -v[0:1]
	v_fma_f64 v[10:11], v[10:11], 2.0, -v[2:3]
	;; [unrolled: 1-line block ×4, first 2 shown]
	v_add_f64 v[30:31], v[0:1], v[6:7]
	v_add_f64 v[32:33], v[2:3], -v[4:5]
	v_fma_f64 v[4:5], v[48:49], v[88:89], -v[20:21]
	v_mul_f64 v[26:27], v[80:81], v[86:87]
	v_fma_f64 v[6:7], v[80:81], v[84:85], -v[24:25]
	v_mul_f64 v[24:25], v[16:17], v[46:47]
	v_add_f64 v[12:13], v[8:9], -v[12:13]
	v_add_f64 v[14:15], v[10:11], -v[14:15]
	v_mul_f64 v[20:21], v[18:19], v[46:47]
	v_fma_f64 v[34:35], v[0:1], 2.0, -v[30:31]
	v_fma_f64 v[36:37], v[2:3], 2.0, -v[32:33]
	v_fma_f64 v[28:29], v[72:73], v[76:77], -v[28:29]
	v_fma_f64 v[18:19], v[44:45], v[18:19], v[24:25]
	v_fma_f64 v[0:1], v[8:9], 2.0, -v[12:13]
	v_fma_f64 v[2:3], v[10:11], 2.0, -v[14:15]
	v_fma_f64 v[8:9], v[50:51], v[88:89], v[22:23]
	v_mul_f64 v[10:11], v[4:5], v[70:71]
	v_mul_f64 v[22:23], v[72:73], v[78:79]
	v_fma_f64 v[24:25], v[82:83], v[84:85], v[26:27]
	v_mul_f64 v[26:27], v[6:7], v[66:67]
	v_fma_f64 v[16:17], v[44:45], v[16:17], -v[20:21]
	v_mul_f64 v[38:39], v[2:3], v[18:19]
	v_mul_f64 v[20:21], v[8:9], v[70:71]
	v_fma_f64 v[8:9], v[68:69], v[8:9], v[10:11]
	v_fma_f64 v[10:11], v[74:75], v[76:77], v[22:23]
	s_waitcnt lgkmcnt(0)
	v_mul_f64 v[22:23], v[28:29], v[62:63]
	v_mul_f64 v[40:41], v[24:25], v[66:67]
	v_fma_f64 v[24:25], v[64:65], v[24:25], v[26:27]
	v_mul_f64 v[18:19], v[0:1], v[18:19]
	v_fma_f64 v[0:1], v[0:1], v[16:17], v[38:39]
	v_fma_f64 v[20:21], v[68:69], v[4:5], -v[20:21]
	v_mul_f64 v[4:5], v[36:37], v[8:9]
	v_mul_f64 v[8:9], v[34:35], v[8:9]
	;; [unrolled: 1-line block ×3, first 2 shown]
	v_fma_f64 v[22:23], v[60:61], v[10:11], v[22:23]
	v_fma_f64 v[10:11], v[64:65], v[6:7], -v[40:41]
	v_mul_f64 v[40:41], v[14:15], v[24:25]
	v_fma_f64 v[2:3], v[2:3], v[16:17], -v[18:19]
	v_mul_f64 v[16:17], v[12:13], v[24:25]
	v_fma_f64 v[4:5], v[34:35], v[20:21], v[4:5]
	v_fma_f64 v[6:7], v[36:37], v[20:21], -v[8:9]
	v_mad_u64_u32 v[20:21], s[0:1], s16, v115, 0
	v_fma_f64 v[18:19], v[60:61], v[28:29], -v[26:27]
	v_mul_f64 v[24:25], v[32:33], v[22:23]
	v_fma_f64 v[8:9], v[12:13], v[10:11], v[40:41]
	v_fma_f64 v[10:11], v[14:15], v[10:11], -v[16:17]
	v_mov_b32_e32 v16, v21
	v_mad_u64_u32 v[16:17], s[0:1], s17, v115, v[16:17]
	v_mul_f64 v[14:15], v[30:31], v[22:23]
	v_fma_f64 v[12:13], v[30:31], v[18:19], v[24:25]
	v_add_u32_e32 v24, 0x48, v113
	v_mov_b32_e32 v21, v16
	v_mad_u64_u32 v[22:23], s[0:1], s16, v24, 0
	v_lshlrev_b64 v[16:17], 4, v[20:21]
	v_fma_f64 v[14:15], v[32:33], v[18:19], -v[14:15]
	v_add_co_u32_e32 v16, vcc, v111, v16
	v_addc_co_u32_e32 v17, vcc, v112, v17, vcc
	v_mov_b32_e32 v18, v23
	global_store_dwordx4 v[16:17], v[0:3], off
	v_or_b32_e32 v16, 0x70, v113
	v_mad_u64_u32 v[18:19], s[0:1], s17, v24, v[18:19]
	v_mad_u64_u32 v[2:3], s[0:1], s16, v16, 0
	v_mov_b32_e32 v23, v18
	v_add_u32_e32 v19, 0x98, v113
	v_mad_u64_u32 v[16:17], s[0:1], s17, v16, v[3:4]
	v_lshlrev_b64 v[0:1], 4, v[22:23]
	v_mad_u64_u32 v[17:18], s[0:1], s16, v19, 0
	v_add_co_u32_e32 v0, vcc, v111, v0
	v_addc_co_u32_e32 v1, vcc, v112, v1, vcc
	v_mov_b32_e32 v3, v16
	global_store_dwordx4 v[0:1], v[4:7], off
	v_lshlrev_b64 v[0:1], 4, v[2:3]
	v_mov_b32_e32 v2, v18
	v_mad_u64_u32 v[2:3], s[0:1], s17, v19, v[2:3]
	v_add_co_u32_e32 v0, vcc, v111, v0
	v_addc_co_u32_e32 v1, vcc, v112, v1, vcc
	v_mov_b32_e32 v18, v2
	global_store_dwordx4 v[0:1], v[8:11], off
	v_lshlrev_b64 v[0:1], 4, v[17:18]
	v_add_co_u32_e32 v0, vcc, v111, v0
	v_addc_co_u32_e32 v1, vcc, v112, v1, vcc
	global_store_dwordx4 v[0:1], v[12:15], off
	s_endpgm
	.section	.rodata,"a",@progbits
	.p2align	6, 0x0
	.amdhsa_kernel fft_rtc_back_len160_factors_4_10_4_wgs_192_tpt_16_dp_ip_CI_sbcc_twdbase5_3step_dirReg
		.amdhsa_group_segment_fixed_size 0
		.amdhsa_private_segment_fixed_size 0
		.amdhsa_kernarg_size 96
		.amdhsa_user_sgpr_count 6
		.amdhsa_user_sgpr_private_segment_buffer 1
		.amdhsa_user_sgpr_dispatch_ptr 0
		.amdhsa_user_sgpr_queue_ptr 0
		.amdhsa_user_sgpr_kernarg_segment_ptr 1
		.amdhsa_user_sgpr_dispatch_id 0
		.amdhsa_user_sgpr_flat_scratch_init 0
		.amdhsa_user_sgpr_private_segment_size 0
		.amdhsa_uses_dynamic_stack 0
		.amdhsa_system_sgpr_private_segment_wavefront_offset 0
		.amdhsa_system_sgpr_workgroup_id_x 1
		.amdhsa_system_sgpr_workgroup_id_y 0
		.amdhsa_system_sgpr_workgroup_id_z 0
		.amdhsa_system_sgpr_workgroup_info 0
		.amdhsa_system_vgpr_workitem_id 0
		.amdhsa_next_free_vgpr 126
		.amdhsa_next_free_sgpr 45
		.amdhsa_reserve_vcc 1
		.amdhsa_reserve_flat_scratch 0
		.amdhsa_float_round_mode_32 0
		.amdhsa_float_round_mode_16_64 0
		.amdhsa_float_denorm_mode_32 3
		.amdhsa_float_denorm_mode_16_64 3
		.amdhsa_dx10_clamp 1
		.amdhsa_ieee_mode 1
		.amdhsa_fp16_overflow 0
		.amdhsa_exception_fp_ieee_invalid_op 0
		.amdhsa_exception_fp_denorm_src 0
		.amdhsa_exception_fp_ieee_div_zero 0
		.amdhsa_exception_fp_ieee_overflow 0
		.amdhsa_exception_fp_ieee_underflow 0
		.amdhsa_exception_fp_ieee_inexact 0
		.amdhsa_exception_int_div_zero 0
	.end_amdhsa_kernel
	.text
.Lfunc_end0:
	.size	fft_rtc_back_len160_factors_4_10_4_wgs_192_tpt_16_dp_ip_CI_sbcc_twdbase5_3step_dirReg, .Lfunc_end0-fft_rtc_back_len160_factors_4_10_4_wgs_192_tpt_16_dp_ip_CI_sbcc_twdbase5_3step_dirReg
                                        ; -- End function
	.section	.AMDGPU.csdata,"",@progbits
; Kernel info:
; codeLenInByte = 9868
; NumSgprs: 49
; NumVgprs: 126
; ScratchSize: 0
; MemoryBound: 1
; FloatMode: 240
; IeeeMode: 1
; LDSByteSize: 0 bytes/workgroup (compile time only)
; SGPRBlocks: 6
; VGPRBlocks: 31
; NumSGPRsForWavesPerEU: 49
; NumVGPRsForWavesPerEU: 126
; Occupancy: 2
; WaveLimiterHint : 1
; COMPUTE_PGM_RSRC2:SCRATCH_EN: 0
; COMPUTE_PGM_RSRC2:USER_SGPR: 6
; COMPUTE_PGM_RSRC2:TRAP_HANDLER: 0
; COMPUTE_PGM_RSRC2:TGID_X_EN: 1
; COMPUTE_PGM_RSRC2:TGID_Y_EN: 0
; COMPUTE_PGM_RSRC2:TGID_Z_EN: 0
; COMPUTE_PGM_RSRC2:TIDIG_COMP_CNT: 0
	.type	__hip_cuid_b56a72c37008df01,@object ; @__hip_cuid_b56a72c37008df01
	.section	.bss,"aw",@nobits
	.globl	__hip_cuid_b56a72c37008df01
__hip_cuid_b56a72c37008df01:
	.byte	0                               ; 0x0
	.size	__hip_cuid_b56a72c37008df01, 1

	.ident	"AMD clang version 19.0.0git (https://github.com/RadeonOpenCompute/llvm-project roc-6.4.0 25133 c7fe45cf4b819c5991fe208aaa96edf142730f1d)"
	.section	".note.GNU-stack","",@progbits
	.addrsig
	.addrsig_sym __hip_cuid_b56a72c37008df01
	.amdgpu_metadata
---
amdhsa.kernels:
  - .args:
      - .actual_access:  read_only
        .address_space:  global
        .offset:         0
        .size:           8
        .value_kind:     global_buffer
      - .address_space:  global
        .offset:         8
        .size:           8
        .value_kind:     global_buffer
      - .offset:         16
        .size:           8
        .value_kind:     by_value
      - .actual_access:  read_only
        .address_space:  global
        .offset:         24
        .size:           8
        .value_kind:     global_buffer
      - .actual_access:  read_only
        .address_space:  global
        .offset:         32
        .size:           8
        .value_kind:     global_buffer
      - .offset:         40
        .size:           8
        .value_kind:     by_value
      - .actual_access:  read_only
        .address_space:  global
        .offset:         48
        .size:           8
        .value_kind:     global_buffer
      - .actual_access:  read_only
        .address_space:  global
        .offset:         56
        .size:           8
        .value_kind:     global_buffer
      - .offset:         64
        .size:           4
        .value_kind:     by_value
      - .actual_access:  read_only
        .address_space:  global
        .offset:         72
        .size:           8
        .value_kind:     global_buffer
      - .actual_access:  read_only
        .address_space:  global
        .offset:         80
        .size:           8
        .value_kind:     global_buffer
      - .address_space:  global
        .offset:         88
        .size:           8
        .value_kind:     global_buffer
    .group_segment_fixed_size: 0
    .kernarg_segment_align: 8
    .kernarg_segment_size: 96
    .language:       OpenCL C
    .language_version:
      - 2
      - 0
    .max_flat_workgroup_size: 192
    .name:           fft_rtc_back_len160_factors_4_10_4_wgs_192_tpt_16_dp_ip_CI_sbcc_twdbase5_3step_dirReg
    .private_segment_fixed_size: 0
    .sgpr_count:     49
    .sgpr_spill_count: 0
    .symbol:         fft_rtc_back_len160_factors_4_10_4_wgs_192_tpt_16_dp_ip_CI_sbcc_twdbase5_3step_dirReg.kd
    .uniform_work_group_size: 1
    .uses_dynamic_stack: false
    .vgpr_count:     126
    .vgpr_spill_count: 0
    .wavefront_size: 64
amdhsa.target:   amdgcn-amd-amdhsa--gfx906
amdhsa.version:
  - 1
  - 2
...

	.end_amdgpu_metadata
